;; amdgpu-corpus repo=ROCm/rocFFT kind=compiled arch=gfx1201 opt=O3
	.text
	.amdgcn_target "amdgcn-amd-amdhsa--gfx1201"
	.amdhsa_code_object_version 6
	.protected	fft_rtc_fwd_len693_factors_11_7_9_wgs_99_tpt_99_halfLds_half_op_CI_CI_unitstride_sbrr_dirReg ; -- Begin function fft_rtc_fwd_len693_factors_11_7_9_wgs_99_tpt_99_halfLds_half_op_CI_CI_unitstride_sbrr_dirReg
	.globl	fft_rtc_fwd_len693_factors_11_7_9_wgs_99_tpt_99_halfLds_half_op_CI_CI_unitstride_sbrr_dirReg
	.p2align	8
	.type	fft_rtc_fwd_len693_factors_11_7_9_wgs_99_tpt_99_halfLds_half_op_CI_CI_unitstride_sbrr_dirReg,@function
fft_rtc_fwd_len693_factors_11_7_9_wgs_99_tpt_99_halfLds_half_op_CI_CI_unitstride_sbrr_dirReg: ; @fft_rtc_fwd_len693_factors_11_7_9_wgs_99_tpt_99_halfLds_half_op_CI_CI_unitstride_sbrr_dirReg
; %bb.0:
	s_clause 0x2
	s_load_b128 s[8:11], s[0:1], 0x0
	s_load_b128 s[4:7], s[0:1], 0x58
	;; [unrolled: 1-line block ×3, first 2 shown]
	v_mul_u32_u24_e32 v1, 0x296, v0
	v_mov_b32_e32 v3, 0
	v_mov_b32_e32 v7, 0
	;; [unrolled: 1-line block ×3, first 2 shown]
	s_delay_alu instid0(VALU_DEP_4) | instskip(NEXT) | instid1(VALU_DEP_1)
	v_lshrrev_b32_e32 v1, 16, v1
	v_dual_mov_b32 v10, v3 :: v_dual_add_nc_u32 v9, ttmp9, v1
	s_wait_kmcnt 0x0
	v_cmp_lt_u64_e64 s2, s[10:11], 2
	s_delay_alu instid0(VALU_DEP_1)
	s_and_b32 vcc_lo, exec_lo, s2
	s_cbranch_vccnz .LBB0_8
; %bb.1:
	s_load_b64 s[2:3], s[0:1], 0x10
	v_mov_b32_e32 v7, 0
	v_mov_b32_e32 v8, 0
	s_delay_alu instid0(VALU_DEP_2)
	v_mov_b32_e32 v1, v7
	s_add_nc_u64 s[16:17], s[14:15], 8
	s_add_nc_u64 s[18:19], s[12:13], 8
	s_mov_b64 s[20:21], 1
	v_mov_b32_e32 v2, v8
	s_wait_kmcnt 0x0
	s_add_nc_u64 s[22:23], s[2:3], 8
	s_mov_b32 s3, 0
.LBB0_2:                                ; =>This Inner Loop Header: Depth=1
	s_load_b64 s[24:25], s[22:23], 0x0
                                        ; implicit-def: $vgpr5_vgpr6
	s_mov_b32 s2, exec_lo
	s_wait_kmcnt 0x0
	v_or_b32_e32 v4, s25, v10
	s_delay_alu instid0(VALU_DEP_1)
	v_cmpx_ne_u64_e32 0, v[3:4]
	s_wait_alu 0xfffe
	s_xor_b32 s26, exec_lo, s2
	s_cbranch_execz .LBB0_4
; %bb.3:                                ;   in Loop: Header=BB0_2 Depth=1
	s_cvt_f32_u32 s2, s24
	s_cvt_f32_u32 s27, s25
	s_sub_nc_u64 s[30:31], 0, s[24:25]
	s_wait_alu 0xfffe
	s_delay_alu instid0(SALU_CYCLE_1) | instskip(SKIP_1) | instid1(SALU_CYCLE_2)
	s_fmamk_f32 s2, s27, 0x4f800000, s2
	s_wait_alu 0xfffe
	v_s_rcp_f32 s2, s2
	s_delay_alu instid0(TRANS32_DEP_1) | instskip(SKIP_1) | instid1(SALU_CYCLE_2)
	s_mul_f32 s2, s2, 0x5f7ffffc
	s_wait_alu 0xfffe
	s_mul_f32 s27, s2, 0x2f800000
	s_wait_alu 0xfffe
	s_delay_alu instid0(SALU_CYCLE_2) | instskip(SKIP_1) | instid1(SALU_CYCLE_2)
	s_trunc_f32 s27, s27
	s_wait_alu 0xfffe
	s_fmamk_f32 s2, s27, 0xcf800000, s2
	s_cvt_u32_f32 s29, s27
	s_wait_alu 0xfffe
	s_delay_alu instid0(SALU_CYCLE_1) | instskip(SKIP_1) | instid1(SALU_CYCLE_2)
	s_cvt_u32_f32 s28, s2
	s_wait_alu 0xfffe
	s_mul_u64 s[34:35], s[30:31], s[28:29]
	s_wait_alu 0xfffe
	s_mul_hi_u32 s37, s28, s35
	s_mul_i32 s36, s28, s35
	s_mul_hi_u32 s2, s28, s34
	s_mul_i32 s33, s29, s34
	s_wait_alu 0xfffe
	s_add_nc_u64 s[36:37], s[2:3], s[36:37]
	s_mul_hi_u32 s27, s29, s34
	s_mul_hi_u32 s38, s29, s35
	s_add_co_u32 s2, s36, s33
	s_wait_alu 0xfffe
	s_add_co_ci_u32 s2, s37, s27
	s_mul_i32 s34, s29, s35
	s_add_co_ci_u32 s35, s38, 0
	s_wait_alu 0xfffe
	s_add_nc_u64 s[34:35], s[2:3], s[34:35]
	s_wait_alu 0xfffe
	v_add_co_u32 v4, s2, s28, s34
	s_delay_alu instid0(VALU_DEP_1) | instskip(SKIP_1) | instid1(VALU_DEP_1)
	s_cmp_lg_u32 s2, 0
	s_add_co_ci_u32 s29, s29, s35
	v_readfirstlane_b32 s28, v4
	s_wait_alu 0xfffe
	s_delay_alu instid0(VALU_DEP_1)
	s_mul_u64 s[30:31], s[30:31], s[28:29]
	s_wait_alu 0xfffe
	s_mul_hi_u32 s35, s28, s31
	s_mul_i32 s34, s28, s31
	s_mul_hi_u32 s2, s28, s30
	s_mul_i32 s33, s29, s30
	s_wait_alu 0xfffe
	s_add_nc_u64 s[34:35], s[2:3], s[34:35]
	s_mul_hi_u32 s27, s29, s30
	s_mul_hi_u32 s28, s29, s31
	s_wait_alu 0xfffe
	s_add_co_u32 s2, s34, s33
	s_add_co_ci_u32 s2, s35, s27
	s_mul_i32 s30, s29, s31
	s_add_co_ci_u32 s31, s28, 0
	s_wait_alu 0xfffe
	s_add_nc_u64 s[30:31], s[2:3], s[30:31]
	s_wait_alu 0xfffe
	v_add_co_u32 v6, s2, v4, s30
	s_delay_alu instid0(VALU_DEP_1) | instskip(SKIP_1) | instid1(VALU_DEP_1)
	s_cmp_lg_u32 s2, 0
	s_add_co_ci_u32 s2, s29, s31
	v_mul_hi_u32 v15, v9, v6
	s_wait_alu 0xfffe
	v_mad_co_u64_u32 v[4:5], null, v9, s2, 0
	v_mad_co_u64_u32 v[11:12], null, v10, v6, 0
	;; [unrolled: 1-line block ×3, first 2 shown]
	s_delay_alu instid0(VALU_DEP_3) | instskip(SKIP_1) | instid1(VALU_DEP_4)
	v_add_co_u32 v4, vcc_lo, v15, v4
	s_wait_alu 0xfffd
	v_add_co_ci_u32_e32 v5, vcc_lo, 0, v5, vcc_lo
	s_delay_alu instid0(VALU_DEP_2) | instskip(SKIP_1) | instid1(VALU_DEP_2)
	v_add_co_u32 v4, vcc_lo, v4, v11
	s_wait_alu 0xfffd
	v_add_co_ci_u32_e32 v4, vcc_lo, v5, v12, vcc_lo
	s_wait_alu 0xfffd
	v_add_co_ci_u32_e32 v5, vcc_lo, 0, v14, vcc_lo
	s_delay_alu instid0(VALU_DEP_2) | instskip(SKIP_1) | instid1(VALU_DEP_2)
	v_add_co_u32 v11, vcc_lo, v4, v13
	s_wait_alu 0xfffd
	v_add_co_ci_u32_e32 v6, vcc_lo, 0, v5, vcc_lo
	s_delay_alu instid0(VALU_DEP_2) | instskip(SKIP_1) | instid1(VALU_DEP_3)
	v_mul_lo_u32 v12, s25, v11
	v_mad_co_u64_u32 v[4:5], null, s24, v11, 0
	v_mul_lo_u32 v13, s24, v6
	s_delay_alu instid0(VALU_DEP_2) | instskip(NEXT) | instid1(VALU_DEP_2)
	v_sub_co_u32 v4, vcc_lo, v9, v4
	v_add3_u32 v5, v5, v13, v12
	s_delay_alu instid0(VALU_DEP_1) | instskip(SKIP_1) | instid1(VALU_DEP_1)
	v_sub_nc_u32_e32 v12, v10, v5
	s_wait_alu 0xfffd
	v_subrev_co_ci_u32_e64 v12, s2, s25, v12, vcc_lo
	v_add_co_u32 v13, s2, v11, 2
	s_wait_alu 0xf1ff
	v_add_co_ci_u32_e64 v14, s2, 0, v6, s2
	v_sub_co_u32 v15, s2, v4, s24
	v_sub_co_ci_u32_e32 v5, vcc_lo, v10, v5, vcc_lo
	s_wait_alu 0xf1ff
	v_subrev_co_ci_u32_e64 v12, s2, 0, v12, s2
	s_delay_alu instid0(VALU_DEP_3) | instskip(NEXT) | instid1(VALU_DEP_3)
	v_cmp_le_u32_e32 vcc_lo, s24, v15
	v_cmp_eq_u32_e64 s2, s25, v5
	s_wait_alu 0xfffd
	v_cndmask_b32_e64 v15, 0, -1, vcc_lo
	v_cmp_le_u32_e32 vcc_lo, s25, v12
	s_wait_alu 0xfffd
	v_cndmask_b32_e64 v16, 0, -1, vcc_lo
	v_cmp_le_u32_e32 vcc_lo, s24, v4
	;; [unrolled: 3-line block ×3, first 2 shown]
	s_wait_alu 0xfffd
	v_cndmask_b32_e64 v17, 0, -1, vcc_lo
	v_cmp_eq_u32_e32 vcc_lo, s25, v12
	s_wait_alu 0xf1ff
	s_delay_alu instid0(VALU_DEP_2)
	v_cndmask_b32_e64 v4, v17, v4, s2
	s_wait_alu 0xfffd
	v_cndmask_b32_e32 v12, v16, v15, vcc_lo
	v_add_co_u32 v15, vcc_lo, v11, 1
	s_wait_alu 0xfffd
	v_add_co_ci_u32_e32 v16, vcc_lo, 0, v6, vcc_lo
	s_delay_alu instid0(VALU_DEP_3) | instskip(SKIP_1) | instid1(VALU_DEP_2)
	v_cmp_ne_u32_e32 vcc_lo, 0, v12
	s_wait_alu 0xfffd
	v_dual_cndmask_b32 v5, v16, v14 :: v_dual_cndmask_b32 v12, v15, v13
	v_cmp_ne_u32_e32 vcc_lo, 0, v4
	s_wait_alu 0xfffd
	s_delay_alu instid0(VALU_DEP_2)
	v_dual_cndmask_b32 v6, v6, v5 :: v_dual_cndmask_b32 v5, v11, v12
.LBB0_4:                                ;   in Loop: Header=BB0_2 Depth=1
	s_wait_alu 0xfffe
	s_and_not1_saveexec_b32 s2, s26
	s_cbranch_execz .LBB0_6
; %bb.5:                                ;   in Loop: Header=BB0_2 Depth=1
	v_cvt_f32_u32_e32 v4, s24
	s_sub_co_i32 s26, 0, s24
	s_delay_alu instid0(VALU_DEP_1) | instskip(NEXT) | instid1(TRANS32_DEP_1)
	v_rcp_iflag_f32_e32 v4, v4
	v_mul_f32_e32 v4, 0x4f7ffffe, v4
	s_delay_alu instid0(VALU_DEP_1) | instskip(SKIP_1) | instid1(VALU_DEP_1)
	v_cvt_u32_f32_e32 v4, v4
	s_wait_alu 0xfffe
	v_mul_lo_u32 v5, s26, v4
	s_delay_alu instid0(VALU_DEP_1) | instskip(NEXT) | instid1(VALU_DEP_1)
	v_mul_hi_u32 v5, v4, v5
	v_add_nc_u32_e32 v4, v4, v5
	s_delay_alu instid0(VALU_DEP_1) | instskip(NEXT) | instid1(VALU_DEP_1)
	v_mul_hi_u32 v4, v9, v4
	v_mul_lo_u32 v5, v4, s24
	v_add_nc_u32_e32 v6, 1, v4
	s_delay_alu instid0(VALU_DEP_2) | instskip(NEXT) | instid1(VALU_DEP_1)
	v_sub_nc_u32_e32 v5, v9, v5
	v_subrev_nc_u32_e32 v11, s24, v5
	v_cmp_le_u32_e32 vcc_lo, s24, v5
	s_wait_alu 0xfffd
	s_delay_alu instid0(VALU_DEP_2) | instskip(NEXT) | instid1(VALU_DEP_1)
	v_dual_cndmask_b32 v5, v5, v11 :: v_dual_cndmask_b32 v4, v4, v6
	v_cmp_le_u32_e32 vcc_lo, s24, v5
	s_delay_alu instid0(VALU_DEP_2) | instskip(SKIP_1) | instid1(VALU_DEP_1)
	v_add_nc_u32_e32 v6, 1, v4
	s_wait_alu 0xfffd
	v_dual_cndmask_b32 v5, v4, v6 :: v_dual_mov_b32 v6, v3
.LBB0_6:                                ;   in Loop: Header=BB0_2 Depth=1
	s_wait_alu 0xfffe
	s_or_b32 exec_lo, exec_lo, s2
	s_delay_alu instid0(VALU_DEP_1) | instskip(NEXT) | instid1(VALU_DEP_2)
	v_mul_lo_u32 v4, v6, s24
	v_mul_lo_u32 v13, v5, s25
	s_load_b64 s[26:27], s[18:19], 0x0
	v_mad_co_u64_u32 v[11:12], null, v5, s24, 0
	s_load_b64 s[24:25], s[16:17], 0x0
	s_add_nc_u64 s[20:21], s[20:21], 1
	s_add_nc_u64 s[16:17], s[16:17], 8
	s_wait_alu 0xfffe
	v_cmp_ge_u64_e64 s2, s[20:21], s[10:11]
	s_add_nc_u64 s[18:19], s[18:19], 8
	s_add_nc_u64 s[22:23], s[22:23], 8
	v_add3_u32 v4, v12, v13, v4
	v_sub_co_u32 v9, vcc_lo, v9, v11
	s_wait_alu 0xfffd
	s_delay_alu instid0(VALU_DEP_2) | instskip(SKIP_2) | instid1(VALU_DEP_1)
	v_sub_co_ci_u32_e32 v4, vcc_lo, v10, v4, vcc_lo
	s_and_b32 vcc_lo, exec_lo, s2
	s_wait_kmcnt 0x0
	v_mul_lo_u32 v10, s26, v4
	v_mul_lo_u32 v11, s27, v9
	v_mad_co_u64_u32 v[7:8], null, s26, v9, v[7:8]
	v_mul_lo_u32 v4, s24, v4
	v_mul_lo_u32 v12, s25, v9
	v_mad_co_u64_u32 v[1:2], null, s24, v9, v[1:2]
	s_delay_alu instid0(VALU_DEP_4) | instskip(NEXT) | instid1(VALU_DEP_2)
	v_add3_u32 v8, v11, v8, v10
	v_add3_u32 v2, v12, v2, v4
	s_wait_alu 0xfffe
	s_cbranch_vccnz .LBB0_9
; %bb.7:                                ;   in Loop: Header=BB0_2 Depth=1
	v_dual_mov_b32 v10, v6 :: v_dual_mov_b32 v9, v5
	s_branch .LBB0_2
.LBB0_8:
	v_dual_mov_b32 v1, v7 :: v_dual_mov_b32 v2, v8
	v_dual_mov_b32 v5, v9 :: v_dual_mov_b32 v6, v10
.LBB0_9:
	s_load_b64 s[0:1], s[0:1], 0x28
	v_mul_hi_u32 v3, 0x295fad5, v0
	v_mov_b32_e32 v28, 0
	s_lshl_b64 s[2:3], s[10:11], 3
                                        ; implicit-def: $vgpr19
                                        ; implicit-def: $vgpr4
                                        ; implicit-def: $vgpr18
                                        ; implicit-def: $vgpr20
                                        ; implicit-def: $vgpr16
                                        ; implicit-def: $vgpr17
                                        ; implicit-def: $vgpr15
                                        ; implicit-def: $vgpr21
                                        ; implicit-def: $vgpr14
                                        ; implicit-def: $vgpr22
                                        ; implicit-def: $vgpr13
                                        ; implicit-def: $vgpr23
                                        ; implicit-def: $vgpr12
                                        ; implicit-def: $vgpr24
                                        ; implicit-def: $vgpr11
                                        ; implicit-def: $vgpr25
                                        ; implicit-def: $vgpr9
                                        ; implicit-def: $vgpr27
                                        ; implicit-def: $vgpr10
                                        ; implicit-def: $vgpr26
	s_delay_alu instid0(VALU_DEP_2) | instskip(NEXT) | instid1(VALU_DEP_1)
	v_mul_u32_u24_e32 v3, 0x63, v3
	v_sub_nc_u32_e32 v3, v0, v3
	v_mov_b32_e32 v0, 0
	s_wait_kmcnt 0x0
	v_cmp_gt_u64_e32 vcc_lo, s[0:1], v[5:6]
	s_delay_alu instid0(VALU_DEP_3) | instskip(NEXT) | instid1(VALU_DEP_1)
	v_cmp_gt_u32_e64 s0, 63, v3
	s_and_b32 s1, vcc_lo, s0
	s_wait_alu 0xfffe
	s_and_saveexec_b32 s10, s1
	s_cbranch_execz .LBB0_11
; %bb.10:
	s_add_nc_u64 s[12:13], s[12:13], s[2:3]
	v_lshlrev_b64_e32 v[7:8], 2, v[7:8]
	s_load_b64 s[12:13], s[12:13], 0x0
	s_wait_kmcnt 0x0
	v_mul_lo_u32 v0, s13, v5
	v_mul_lo_u32 v4, s12, v6
	v_mad_co_u64_u32 v[9:10], null, s12, v5, 0
	s_delay_alu instid0(VALU_DEP_1) | instskip(SKIP_1) | instid1(VALU_DEP_2)
	v_add3_u32 v10, v10, v4, v0
	v_mov_b32_e32 v4, 0
	v_lshlrev_b64_e32 v[9:10], 2, v[9:10]
	s_delay_alu instid0(VALU_DEP_1) | instskip(SKIP_1) | instid1(VALU_DEP_2)
	v_add_co_u32 v0, s1, s4, v9
	s_wait_alu 0xf1ff
	v_add_co_ci_u32_e64 v11, s1, s5, v10, s1
	v_lshlrev_b64_e32 v[9:10], 2, v[3:4]
	s_delay_alu instid0(VALU_DEP_3) | instskip(SKIP_1) | instid1(VALU_DEP_3)
	v_add_co_u32 v0, s1, v0, v7
	s_wait_alu 0xf1ff
	v_add_co_ci_u32_e64 v4, s1, v11, v8, s1
	s_delay_alu instid0(VALU_DEP_2) | instskip(SKIP_1) | instid1(VALU_DEP_2)
	v_add_co_u32 v7, s1, v0, v9
	s_wait_alu 0xf1ff
	v_add_co_ci_u32_e64 v8, s1, v4, v10, s1
	s_clause 0xa
	global_load_b32 v28, v[7:8], off
	global_load_b32 v4, v[7:8], off offset:252
	global_load_b32 v20, v[7:8], off offset:504
	;; [unrolled: 1-line block ×10, first 2 shown]
	s_wait_loadcnt 0xa
	v_lshrrev_b32_e32 v0, 16, v28
	s_wait_loadcnt 0x9
	v_lshrrev_b32_e32 v19, 16, v4
	;; [unrolled: 2-line block ×11, first 2 shown]
.LBB0_11:
	s_wait_alu 0xfffe
	s_or_b32 exec_lo, exec_lo, s10
	v_add_f16_e32 v39, v4, v27
	s_delay_alu instid0(VALU_DEP_2)
	v_sub_f16_e32 v41, v19, v9
	v_add_f16_e32 v33, v20, v26
	v_sub_f16_e32 v42, v18, v10
	v_add_f16_e32 v34, v17, v25
	v_pk_mul_f16 v32, 0xb08eb93d, v39 op_sel_hi:[1,0]
	v_sub_f16_e32 v38, v16, v11
	v_pk_mul_f16 v8, 0xbbadb08e, v33 op_sel_hi:[1,0]
	v_add_f16_e32 v35, v21, v24
	v_pk_mul_f16 v29, 0x36a63abb, v34 op_sel_hi:[1,0]
	v_pk_fma_f16 v7, 0xbbebba0c, v41, v32 op_sel_hi:[1,0,1]
	v_sub_f16_e32 v40, v15, v12
	v_pk_fma_f16 v31, 0x34823beb, v42, v8 op_sel_hi:[1,0,1]
	v_pk_mul_f16 v30, 0x3abbbbad, v35 op_sel_hi:[1,0]
	v_pk_fma_f16 v43, 0x3b47b853, v38, v29 op_sel_hi:[1,0,1]
	v_pk_add_f16 v7, v28, v7 op_sel_hi:[0,1]
	v_add_f16_e32 v36, v22, v23
	v_sub_f16_e32 v37, v14, v13
	v_pk_fma_f16 v44, 0xb853b482, v40, v30 op_sel_hi:[1,0,1]
	s_delay_alu instid0(VALU_DEP_4) | instskip(NEXT) | instid1(VALU_DEP_4)
	v_pk_add_f16 v7, v7, v31
	v_pk_mul_f16 v31, 0xb93d36a6, v36 op_sel_hi:[1,0]
	s_delay_alu instid0(VALU_DEP_2) | instskip(NEXT) | instid1(VALU_DEP_2)
	v_pk_add_f16 v7, v43, v7
	v_pk_fma_f16 v43, 0xba0c3b47, v37, v31 op_sel_hi:[1,0,1]
	s_delay_alu instid0(VALU_DEP_2) | instskip(NEXT) | instid1(VALU_DEP_1)
	v_pk_add_f16 v7, v44, v7
	v_pk_add_f16 v7, v43, v7
	s_and_saveexec_b32 s1, s0
	s_cbranch_execz .LBB0_13
; %bb.12:
	v_pack_b32_f16 v44, v41, v41
	v_pk_mul_f16 v45, 0xbbebba0c, v41 op_sel_hi:[1,0]
	v_mul_f16_e32 v41, 0xb482, v41
	v_pack_b32_f16 v43, v39, v39
	v_pack_b32_f16 v48, v42, v42
	v_pk_mul_f16 v49, 0x34823beb, v42 op_sel_hi:[1,0]
	v_mul_f16_e32 v42, 0x3853, v42
	v_fmamk_f16 v56, v39, 0xbbad, v41
	v_fma_f16 v39, v39, 0xbbad, -v41
	v_perm_b32 v46, v28, v28, 0x5040100
	v_pack_b32_f16 v47, v33, v33
	v_pack_b32_f16 v51, v38, v38
	v_pk_mul_f16 v52, 0x3b47b853, v38 op_sel_hi:[1,0]
	v_add_f16_e32 v41, v28, v56
	v_add_f16_e32 v56, v28, v4
	v_fmamk_f16 v59, v33, 0x3abb, v42
	v_mul_f16_e32 v38, 0xba0c, v38
	v_add_f16_e32 v28, v28, v39
	v_fma_f16 v33, v33, 0x3abb, -v42
	v_pack_b32_f16 v50, v34, v34
	v_pack_b32_f16 v54, v40, v40
	v_pk_mul_f16 v55, 0xb853b482, v40 op_sel_hi:[1,0]
	v_fmamk_f16 v42, v34, 0xb93d, v38
	v_mul_f16_e32 v40, 0x3b47, v40
	v_add_f16_e32 v28, v28, v33
	v_fma_f16 v34, v34, 0xb93d, -v38
	v_add_f16_e32 v39, v56, v20
	v_add_f16_e32 v41, v41, v59
	v_pack_b32_f16 v53, v35, v35
	v_pack_b32_f16 v57, v36, v36
	v_add_f16_e32 v28, v34, v28
	v_fma_f16 v34, v35, 0x36a6, -v40
	v_add_f16_e32 v33, v39, v17
	v_add_f16_e32 v38, v42, v41
	v_fmamk_f16 v39, v35, 0x36a6, v40
	v_mul_f16_e32 v41, 0xbbeb, v37
	v_add_f16_e32 v28, v34, v28
	v_pk_mul_f16 v34, 0x36a63abb, v43
	v_add_f16_e32 v33, v33, v21
	v_pack_b32_f16 v58, v37, v37
	v_pk_mul_f16 v35, 0xba0c3b47, v37 op_sel_hi:[1,0]
	v_add_f16_e32 v37, v39, v38
	v_fmamk_f16 v38, v36, 0xb08e, v41
	v_fma_f16 v36, v36, 0xb08e, -v41
	v_pk_mul_f16 v39, 0xb93d36a6, v47
	v_pk_fma_f16 v41, 0xbb47b853, v44, v34 neg_lo:[0,1,0] neg_hi:[0,1,0]
	v_add_f16_e32 v33, v33, v22
	v_pk_add_f16 v32, v32, v45 neg_lo:[0,1] neg_hi:[0,1]
	v_pk_mul_f16 v40, 0xbbadb08e, v50
	v_pk_fma_f16 v45, 0xba0cbb47, v48, v39 neg_lo:[0,1,0] neg_hi:[0,1,0]
	v_pk_add_f16 v41, v46, v41
	v_pk_fma_f16 v34, 0xbb47b853, v44, v34
	v_add_f16_e32 v33, v33, v23
	v_pk_add_f16 v32, v46, v32
	v_pk_add_f16 v8, v8, v49 neg_lo:[0,1] neg_hi:[0,1]
	v_pk_mul_f16 v42, 0xb08eb93d, v53
	v_pk_add_f16 v41, v41, v45
	v_pk_fma_f16 v44, 0x3482bbeb, v51, v40 neg_lo:[0,1,0] neg_hi:[0,1,0]
	v_pk_add_f16 v34, v46, v34
	v_pk_fma_f16 v39, 0xba0cbb47, v48, v39
	v_add_f16_e32 v33, v33, v24
	v_pk_add_f16 v8, v32, v8
	v_pk_add_f16 v29, v29, v52 neg_lo:[0,1] neg_hi:[0,1]
	v_pk_mul_f16 v43, 0x3abbbbad, v57
	v_pk_add_f16 v32, v44, v41
	v_pk_fma_f16 v41, 0x3bebba0c, v54, v42 neg_lo:[0,1,0] neg_hi:[0,1,0]
	v_pk_add_f16 v34, v34, v39
	v_pk_fma_f16 v39, 0x3482bbeb, v51, v40
	v_add_f16_e32 v33, v33, v25
	v_pk_add_f16 v8, v29, v8
	v_pk_add_f16 v29, v30, v55 neg_lo:[0,1] neg_hi:[0,1]
	v_pk_add_f16 v30, v41, v32
	v_pk_fma_f16 v32, 0x3853b482, v58, v43 neg_lo:[0,1,0] neg_hi:[0,1,0]
	v_pk_add_f16 v34, v39, v34
	v_pk_fma_f16 v39, 0x3bebba0c, v54, v42
	v_pk_add_f16 v8, v29, v8
	v_pk_add_f16 v29, v31, v35 neg_lo:[0,1] neg_hi:[0,1]
	v_add_f16_e32 v31, v33, v26
	v_pk_add_f16 v32, v32, v30
	v_pk_add_f16 v30, v39, v34
	v_pk_fma_f16 v33, 0x3853b482, v58, v43
	v_pk_add_f16 v8, v29, v8
	v_add_f16_e32 v28, v36, v28
	v_add_f16_e32 v31, v27, v31
	v_mad_u32_u24 v34, v3, 22, 0
	v_pk_add_f16 v33, v33, v30
	v_perm_b32 v29, v8, v32, 0x7060302
	v_pack_b32_f16 v30, v8, v28
	v_pack_b32_f16 v28, v31, v32
	v_add_f16_e32 v31, v38, v37
	v_alignbit_b32 v8, v33, v33, 16
	ds_store_b96 v34, v[28:30]
	ds_store_b16 v34, v31 offset:12
	ds_store_b64 v34, v[7:8] offset:14
.LBB0_13:
	s_wait_alu 0xfffe
	s_or_b32 exec_lo, exec_lo, s1
	v_sub_f16_e32 v39, v4, v27
	v_add_f16_e32 v36, v19, v9
	v_sub_f16_e32 v37, v20, v26
	v_add_f16_e32 v35, v18, v10
	v_sub_f16_e32 v40, v17, v25
	v_pk_mul_f16 v27, 0xbbebba0c, v39 op_sel_hi:[1,0]
	v_add_f16_e32 v34, v16, v11
	v_pk_mul_f16 v28, 0x34823beb, v37 op_sel_hi:[1,0]
	v_sub_f16_e32 v38, v21, v24
	v_sub_f16_e32 v26, v22, v23
	v_pk_fma_f16 v4, 0xb08eb93d, v36, v27 op_sel_hi:[1,0,1] neg_lo:[0,0,1] neg_hi:[0,0,1]
	global_wb scope:SCOPE_SE
	s_wait_dscnt 0x0
	v_pk_fma_f16 v8, 0xbbadb08e, v35, v28 op_sel_hi:[1,0,1] neg_lo:[0,0,1] neg_hi:[0,0,1]
	v_pk_mul_f16 v30, 0x3b47b853, v40 op_sel_hi:[1,0]
	s_barrier_signal -1
	v_pk_add_f16 v17, v0, v4 op_sel_hi:[0,1]
	v_lshl_add_u32 v4, v3, 1, 0
	s_barrier_wait -1
	global_inv scope:SCOPE_SE
	v_add_f16_e32 v32, v15, v12
	v_pk_add_f16 v8, v17, v8
	ds_load_u16 v17, v4
	ds_load_u16 v25, v4 offset:198
	ds_load_u16 v24, v4 offset:396
	;; [unrolled: 1-line block ×6, first 2 shown]
	v_pk_mul_f16 v31, 0xb853b482, v38 op_sel_hi:[1,0]
	v_pk_fma_f16 v33, 0x36a63abb, v34, v30 op_sel_hi:[1,0,1] neg_lo:[0,0,1] neg_hi:[0,0,1]
	v_add_f16_e32 v29, v14, v13
	s_add_nc_u64 s[2:3], s[14:15], s[2:3]
	global_wb scope:SCOPE_SE
	s_wait_dscnt 0x0
	v_pk_fma_f16 v41, 0x3abbbbad, v32, v31 op_sel_hi:[1,0,1] neg_lo:[0,0,1] neg_hi:[0,0,1]
	v_pk_add_f16 v8, v33, v8
	v_pk_mul_f16 v33, 0xba0c3b47, v26 op_sel_hi:[1,0]
	s_barrier_signal -1
	s_barrier_wait -1
	global_inv scope:SCOPE_SE
	v_pk_add_f16 v8, v41, v8
	v_pk_fma_f16 v41, 0xb93d36a6, v29, v33 op_sel_hi:[1,0,1] neg_lo:[0,0,1] neg_hi:[0,0,1]
	s_delay_alu instid0(VALU_DEP_1)
	v_pk_add_f16 v8, v41, v8
	s_and_saveexec_b32 s1, s0
	s_cbranch_execz .LBB0_15
; %bb.14:
	v_add_f16_e32 v19, v0, v19
	v_pack_b32_f16 v41, v36, v36
	v_pack_b32_f16 v42, v39, v39
	v_pk_mul_f16 v50, 0xb08eb93d, v36 op_sel_hi:[1,0]
	v_perm_b32 v43, v0, v0, 0x5040100
	v_add_f16_e32 v18, v19, v18
	v_pack_b32_f16 v19, v37, v37
	v_mul_f16_e32 v37, 0x3853, v37
	v_pack_b32_f16 v44, v35, v35
	v_pack_b32_f16 v46, v40, v40
	v_add_f16_e32 v16, v18, v16
	v_pack_b32_f16 v18, v38, v38
	v_mul_f16_e32 v38, 0x3b47, v38
	v_pack_b32_f16 v45, v34, v34
	v_pk_add_f16 v27, v50, v27
	v_add_f16_e32 v15, v16, v15
	v_pk_mul_f16 v16, 0xbbadb08e, v35 op_sel_hi:[1,0]
	v_pk_mul_f16 v51, 0x36a63abb, v34 op_sel_hi:[1,0]
	v_pack_b32_f16 v47, v32, v32
	v_pk_add_f16 v27, v43, v27
	v_add_f16_e32 v14, v15, v14
	v_mul_f16_e32 v15, 0xb482, v39
	v_mul_f16_e32 v39, 0xba0c, v40
	v_pk_add_f16 v16, v16, v28
	v_pack_b32_f16 v49, v26, v26
	v_add_f16_e32 v13, v14, v13
	v_fmamk_f16 v14, v36, 0xbbad, v15
	v_fma_f16 v15, v36, 0xbbad, -v15
	v_fmamk_f16 v36, v35, 0x3abb, v37
	v_pk_mul_f16 v52, 0x3abbbbad, v32 op_sel_hi:[1,0]
	v_add_f16_e32 v12, v13, v12
	v_add_f16_e32 v13, v0, v14
	v_fmamk_f16 v14, v34, 0xb93d, v39
	v_add_f16_e32 v0, v0, v15
	v_fmamk_f16 v15, v32, 0x36a6, v38
	v_add_f16_e32 v11, v12, v11
	v_add_f16_e32 v12, v13, v36
	v_pk_mul_f16 v13, 0xbb47b853, v42
	v_fma_f16 v35, v35, 0x3abb, -v37
	v_pack_b32_f16 v48, v29, v29
	v_add_f16_e32 v10, v11, v10
	v_add_f16_e32 v11, v14, v12
	v_pk_fma_f16 v12, 0x36a63abb, v41, v13
	v_pk_mul_f16 v14, 0xba0cbb47, v19
	v_pk_fma_f16 v13, 0x36a63abb, v41, v13 neg_lo:[0,0,1] neg_hi:[0,0,1]
	v_add_f16_e32 v9, v9, v10
	v_add_f16_e32 v10, v15, v11
	v_pk_add_f16 v11, v43, v12
	v_pk_fma_f16 v12, 0xb93d36a6, v44, v14
	v_pk_mul_f16 v15, 0x3482bbeb, v46
	v_pk_add_f16 v13, v43, v13
	v_pk_fma_f16 v14, 0xb93d36a6, v44, v14 neg_lo:[0,0,1] neg_hi:[0,0,1]
	v_pk_mul_f16 v53, 0xb93d36a6, v29 op_sel_hi:[1,0]
	v_pk_add_f16 v11, v11, v12
	v_pk_fma_f16 v12, 0xbbadb08e, v45, v15
	v_fma_f16 v34, v34, 0xb93d, -v39
	v_pk_add_f16 v13, v13, v14
	v_pk_fma_f16 v14, 0xbbadb08e, v45, v15 neg_lo:[0,0,1] neg_hi:[0,0,1]
	v_pk_add_f16 v15, v27, v16
	v_pk_add_f16 v11, v12, v11
	v_pk_mul_f16 v12, 0x3bebba0c, v18
	v_pk_add_f16 v16, v51, v30
	v_pk_mul_f16 v27, 0x3853b482, v49
	v_pk_add_f16 v13, v14, v13
	v_add_f16_e32 v0, v0, v35
	v_pk_fma_f16 v18, 0xb08eb93d, v47, v12
	v_pk_fma_f16 v12, 0xb08eb93d, v47, v12 neg_lo:[0,0,1] neg_hi:[0,0,1]
	v_pk_add_f16 v14, v16, v15
	v_pk_add_f16 v15, v52, v31
	v_mul_f16_e32 v16, 0xbbeb, v26
	v_pk_add_f16 v11, v18, v11
	v_pk_fma_f16 v18, 0x3abbbbad, v48, v27
	v_pk_add_f16 v12, v12, v13
	v_pk_add_f16 v13, v15, v14
	;; [unrolled: 1-line block ×3, first 2 shown]
	v_fmamk_f16 v15, v29, 0xb08e, v16
	v_add_f16_e32 v0, v34, v0
	v_fma_f16 v19, v32, 0x36a6, -v38
	v_pk_fma_f16 v26, 0x3abbbbad, v48, v27 neg_lo:[0,0,1] neg_hi:[0,0,1]
	v_pk_add_f16 v18, v18, v11
	v_pk_add_f16 v13, v14, v13
	v_add_f16_e32 v10, v15, v10
	v_add_f16_e32 v0, v19, v0
	v_fma_f16 v15, v29, 0xb08e, -v16
	v_pk_add_f16 v14, v26, v12
	v_mad_u32_u24 v16, v3, 20, v4
	v_perm_b32 v11, v13, v18, 0x7060302
	v_pack_b32_f16 v12, v13, v10
	v_pack_b32_f16 v10, v9, v18
	v_add_f16_e32 v0, v15, v0
	v_alignbit_b32 v9, v14, v14, 16
	ds_store_b96 v16, v[10:12]
	ds_store_b16 v16, v0 offset:12
	ds_store_b64 v16, v[8:9] offset:14
.LBB0_15:
	s_wait_alu 0xfffe
	s_or_b32 exec_lo, exec_lo, s1
	v_and_b32_e32 v0, 0xff, v3
	s_load_b64 s[2:3], s[2:3], 0x0
	global_wb scope:SCOPE_SE
	s_wait_dscnt 0x0
	s_wait_kmcnt 0x0
	s_barrier_signal -1
	s_barrier_wait -1
	v_mul_lo_u16 v0, 0x75, v0
	global_inv scope:SCOPE_SE
	v_cmp_gt_u32_e64 s0, 0x4d, v3
	v_lshrrev_b16 v0, 8, v0
	s_delay_alu instid0(VALU_DEP_1) | instskip(NEXT) | instid1(VALU_DEP_1)
	v_sub_nc_u16 v9, v3, v0
	v_lshrrev_b16 v9, 1, v9
	s_delay_alu instid0(VALU_DEP_1) | instskip(NEXT) | instid1(VALU_DEP_1)
	v_and_b32_e32 v9, 0x7f, v9
	v_add_nc_u16 v0, v9, v0
	s_delay_alu instid0(VALU_DEP_1) | instskip(NEXT) | instid1(VALU_DEP_1)
	v_lshrrev_b16 v0, 3, v0
	v_mul_lo_u16 v9, v0, 11
	v_and_b32_e32 v0, 0xffff, v0
	s_delay_alu instid0(VALU_DEP_2) | instskip(NEXT) | instid1(VALU_DEP_2)
	v_sub_nc_u16 v9, v3, v9
	v_mul_u32_u24_e32 v0, 0x9a, v0
	s_delay_alu instid0(VALU_DEP_2) | instskip(NEXT) | instid1(VALU_DEP_1)
	v_and_b32_e32 v9, 0xff, v9
	v_mul_u32_u24_e32 v10, 6, v9
	v_lshlrev_b32_e32 v16, 1, v9
	s_delay_alu instid0(VALU_DEP_2) | instskip(NEXT) | instid1(VALU_DEP_2)
	v_lshlrev_b32_e32 v14, 2, v10
	v_add3_u32 v26, 0, v0, v16
	s_clause 0x1
	global_load_b128 v[10:13], v14, s[8:9]
	global_load_b64 v[14:15], v14, s[8:9] offset:16
	ds_load_u16 v30, v4 offset:198
	ds_load_u16 v31, v4 offset:396
	;; [unrolled: 1-line block ×4, first 2 shown]
	ds_load_u16 v9, v4
	ds_load_u16 v34, v4 offset:990
	ds_load_u16 v35, v4 offset:1188
	global_wb scope:SCOPE_SE
	s_wait_loadcnt_dscnt 0x0
	s_barrier_signal -1
	s_barrier_wait -1
	global_inv scope:SCOPE_SE
	v_lshrrev_b32_e32 v0, 16, v10
	v_lshrrev_b32_e32 v16, 16, v11
	;; [unrolled: 1-line block ×6, first 2 shown]
	v_mul_f16_e32 v37, v30, v0
	v_mul_f16_e32 v18, v25, v0
	;; [unrolled: 1-line block ×12, first 2 shown]
	v_fma_f16 v25, v25, v10, -v37
	v_fma_f16 v24, v24, v11, -v0
	;; [unrolled: 1-line block ×4, first 2 shown]
	v_fmac_f16_e32 v18, v30, v10
	v_fmac_f16_e32 v19, v31, v11
	v_fma_f16 v22, v22, v12, -v38
	v_fmac_f16_e32 v16, v32, v12
	v_fma_f16 v21, v21, v13, -v39
	v_fmac_f16_e32 v29, v35, v15
	v_fmac_f16_e32 v27, v33, v13
	;; [unrolled: 1-line block ×3, first 2 shown]
	v_add_f16_e32 v0, v25, v23
	v_add_f16_e32 v10, v24, v20
	v_sub_f16_e32 v11, v18, v29
	v_add_f16_e32 v12, v22, v21
	v_sub_f16_e32 v13, v19, v28
	v_sub_f16_e32 v14, v27, v16
	v_add_f16_e32 v15, v10, v0
	v_sub_f16_e32 v30, v10, v0
	v_sub_f16_e32 v0, v0, v12
	;; [unrolled: 1-line block ×3, first 2 shown]
	v_add_f16_e32 v31, v14, v13
	v_sub_f16_e32 v32, v14, v13
	v_sub_f16_e32 v13, v13, v11
	v_add_f16_e32 v12, v12, v15
	v_sub_f16_e32 v14, v11, v14
	v_add_f16_e32 v11, v31, v11
	v_mul_f16_e32 v15, 0x3a52, v0
	v_mul_f16_e32 v31, 0x2b26, v10
	;; [unrolled: 1-line block ×4, first 2 shown]
	v_add_f16_e32 v0, v17, v12
	v_fmamk_f16 v10, v10, 0x2b26, v15
	v_fma_f16 v17, v30, 0x39e0, -v31
	v_fmamk_f16 v31, v14, 0x3574, v32
	v_fma_f16 v13, v13, 0x3b00, -v32
	v_fma_f16 v14, v14, 0xb574, -v33
	v_fmamk_f16 v12, v12, 0xbcab, v0
	v_fma_f16 v15, v30, 0xb9e0, -v15
	v_fmac_f16_e32 v31, 0x370e, v11
	v_fmac_f16_e32 v13, 0x370e, v11
	;; [unrolled: 1-line block ×3, first 2 shown]
	v_add_f16_e32 v30, v10, v12
	v_add_f16_e32 v15, v15, v12
	;; [unrolled: 1-line block ×3, first 2 shown]
	s_delay_alu instid0(VALU_DEP_3) | instskip(NEXT) | instid1(VALU_DEP_3)
	v_add_f16_e32 v10, v31, v30
	v_add_f16_e32 v11, v14, v15
	s_delay_alu instid0(VALU_DEP_3)
	v_sub_f16_e32 v12, v17, v13
	v_add_f16_e32 v13, v13, v17
	v_sub_f16_e32 v15, v15, v14
	v_sub_f16_e32 v14, v30, v31
	ds_store_b16 v26, v0
	ds_store_b16 v26, v10 offset:22
	ds_store_b16 v26, v11 offset:44
	;; [unrolled: 1-line block ×6, first 2 shown]
	global_wb scope:SCOPE_SE
	s_wait_dscnt 0x0
	s_barrier_signal -1
	s_barrier_wait -1
	global_inv scope:SCOPE_SE
	s_and_saveexec_b32 s1, s0
	s_cbranch_execz .LBB0_17
; %bb.16:
	ds_load_u16 v7, v4 offset:1078
	ds_load_u16 v0, v4
	ds_load_u16 v10, v4 offset:154
	ds_load_u16 v11, v4 offset:308
	;; [unrolled: 1-line block ×6, first 2 shown]
	s_wait_dscnt 0x7
	ds_load_u16_d16_hi v7, v4 offset:1232
.LBB0_17:
	s_wait_alu 0xfffe
	s_or_b32 exec_lo, exec_lo, s1
	v_add_f16_e32 v17, v18, v29
	v_add_f16_e32 v18, v19, v28
	v_sub_f16_e32 v19, v25, v23
	v_add_f16_e32 v16, v16, v27
	v_sub_f16_e32 v20, v24, v20
	v_sub_f16_e32 v21, v21, v22
	v_add_f16_e32 v22, v18, v17
	v_sub_f16_e32 v23, v18, v17
	v_sub_f16_e32 v17, v17, v16
	;; [unrolled: 1-line block ×3, first 2 shown]
	v_add_f16_e32 v24, v21, v20
	v_add_f16_e32 v16, v16, v22
	v_sub_f16_e32 v22, v21, v20
	v_sub_f16_e32 v20, v20, v19
	;; [unrolled: 1-line block ×3, first 2 shown]
	v_add_f16_e32 v19, v24, v19
	v_add_f16_e32 v9, v9, v16
	v_mul_f16_e32 v17, 0x3a52, v17
	v_mul_f16_e32 v24, 0x2b26, v18
	;; [unrolled: 1-line block ×4, first 2 shown]
	v_fmamk_f16 v16, v16, 0xbcab, v9
	v_fmamk_f16 v18, v18, 0x2b26, v17
	v_fma_f16 v24, v23, 0x39e0, -v24
	v_fma_f16 v17, v23, 0xb9e0, -v17
	v_fmamk_f16 v23, v21, 0x3574, v22
	v_fma_f16 v20, v20, 0x3b00, -v22
	v_fma_f16 v21, v21, 0xb574, -v25
	v_add_f16_e32 v22, v18, v16
	v_add_f16_e32 v24, v24, v16
	;; [unrolled: 1-line block ×3, first 2 shown]
	v_fmac_f16_e32 v23, 0x370e, v19
	v_fmac_f16_e32 v21, 0x370e, v19
	;; [unrolled: 1-line block ×3, first 2 shown]
	global_wb scope:SCOPE_SE
	s_wait_dscnt 0x0
	s_barrier_signal -1
	v_sub_f16_e32 v16, v22, v23
	v_sub_f16_e32 v18, v25, v21
	v_add_f16_e32 v17, v20, v24
	v_sub_f16_e32 v19, v24, v20
	v_add_f16_e32 v21, v21, v25
	v_add_f16_e32 v20, v23, v22
	s_barrier_wait -1
	global_inv scope:SCOPE_SE
	ds_store_b16 v26, v9
	ds_store_b16 v26, v16 offset:22
	ds_store_b16 v26, v18 offset:44
	ds_store_b16 v26, v17 offset:66
	ds_store_b16 v26, v19 offset:88
	ds_store_b16 v26, v21 offset:110
	ds_store_b16 v26, v20 offset:132
	global_wb scope:SCOPE_SE
	s_wait_dscnt 0x0
	s_barrier_signal -1
	s_barrier_wait -1
	global_inv scope:SCOPE_SE
	s_and_saveexec_b32 s1, s0
	s_cbranch_execnz .LBB0_20
; %bb.18:
	s_wait_alu 0xfffe
	s_or_b32 exec_lo, exec_lo, s1
	s_and_b32 s0, vcc_lo, s0
	s_wait_alu 0xfffe
	s_and_saveexec_b32 s1, s0
	s_cbranch_execnz .LBB0_21
.LBB0_19:
	s_endpgm
.LBB0_20:
	ds_load_u16 v8, v4 offset:1078
	ds_load_u16 v9, v4
	ds_load_u16 v16, v4 offset:154
	ds_load_u16 v18, v4 offset:308
	;; [unrolled: 1-line block ×6, first 2 shown]
	s_wait_dscnt 0x7
	ds_load_u16_d16_hi v8, v4 offset:1232
	s_wait_alu 0xfffe
	s_or_b32 exec_lo, exec_lo, s1
	s_and_b32 s0, vcc_lo, s0
	s_wait_alu 0xfffe
	s_and_saveexec_b32 s1, s0
	s_cbranch_execz .LBB0_19
.LBB0_21:
	v_dual_mov_b32 v30, 0 :: v_dual_lshlrev_b32 v29, 3, v3
	v_mul_lo_u32 v31, s3, v5
	v_mul_lo_u32 v6, s2, v6
	v_mad_co_u64_u32 v[4:5], null, s2, v5, 0
	s_delay_alu instid0(VALU_DEP_4) | instskip(SKIP_1) | instid1(VALU_DEP_3)
	v_lshlrev_b64_e32 v[22:23], 2, v[29:30]
	v_lshlrev_b64_e32 v[1:2], 2, v[1:2]
	v_add3_u32 v5, v5, v6, v31
	s_delay_alu instid0(VALU_DEP_3) | instskip(SKIP_1) | instid1(VALU_DEP_4)
	v_add_co_u32 v26, vcc_lo, s8, v22
	s_wait_alu 0xfffd
	v_add_co_ci_u32_e32 v27, vcc_lo, s9, v23, vcc_lo
	s_delay_alu instid0(VALU_DEP_3)
	v_lshlrev_b64_e32 v[5:6], 2, v[4:5]
	s_clause 0x1
	global_load_b128 v[22:25], v[26:27], off offset:264
	global_load_b128 v[26:29], v[26:27], off offset:280
	v_mov_b32_e32 v4, v30
	v_lshrrev_b32_e32 v31, 16, v7
	v_add_co_u32 v5, vcc_lo, s6, v5
	s_wait_alu 0xfffd
	v_add_co_ci_u32_e32 v6, vcc_lo, s7, v6, vcc_lo
	v_lshlrev_b64_e32 v[3:4], 2, v[3:4]
	s_delay_alu instid0(VALU_DEP_3) | instskip(SKIP_1) | instid1(VALU_DEP_3)
	v_add_co_u32 v1, vcc_lo, v5, v1
	s_wait_alu 0xfffd
	v_add_co_ci_u32_e32 v2, vcc_lo, v6, v2, vcc_lo
	s_wait_dscnt 0x0
	v_lshrrev_b32_e32 v5, 16, v8
	v_add_co_u32 v1, vcc_lo, v1, v3
	s_wait_alu 0xfffd
	v_add_co_ci_u32_e32 v2, vcc_lo, v2, v4, vcc_lo
	s_wait_loadcnt 0x1
	v_lshrrev_b32_e32 v3, 16, v22
	v_lshrrev_b32_e32 v4, 16, v23
	v_mul_f16_e32 v32, v16, v22
	s_wait_loadcnt 0x0
	v_lshrrev_b32_e32 v35, 16, v28
	v_lshrrev_b32_e32 v36, 16, v29
	v_mul_f16_e32 v40, v18, v23
	v_lshrrev_b32_e32 v6, 16, v24
	v_lshrrev_b32_e32 v30, 16, v25
	;; [unrolled: 1-line block ×4, first 2 shown]
	v_mul_f16_e32 v37, v5, v29
	v_mul_f16_e32 v38, v17, v24
	;; [unrolled: 1-line block ×5, first 2 shown]
	v_fmac_f16_e32 v32, v10, v3
	v_fmac_f16_e32 v40, v11, v4
	v_mul_f16_e32 v8, v8, v35
	v_mul_f16_e32 v4, v18, v4
	;; [unrolled: 1-line block ×5, first 2 shown]
	v_fmac_f16_e32 v37, v31, v36
	v_fmac_f16_e32 v38, v12, v6
	;; [unrolled: 1-line block ×5, first 2 shown]
	v_mul_f16_e32 v21, v21, v33
	v_mul_f16_e32 v19, v19, v30
	;; [unrolled: 1-line block ×4, first 2 shown]
	v_fma_f16 v7, v7, v28, -v8
	v_fma_f16 v4, v11, v23, -v4
	v_fma_f16 v5, v31, v29, -v5
	v_fma_f16 v3, v10, v22, -v3
	v_fmac_f16_e32 v39, v14, v34
	v_sub_f16_e32 v30, v42, v43
	v_fma_f16 v15, v15, v26, -v21
	v_fma_f16 v13, v13, v25, -v19
	v_fma_f16 v8, v14, v27, -v18
	v_fma_f16 v6, v12, v24, -v6
	v_add_f16_e32 v11, v40, v41
	v_add_f16_e32 v14, v32, v37
	;; [unrolled: 1-line block ×4, first 2 shown]
	v_sub_f16_e32 v20, v40, v41
	v_add_f16_e32 v12, v38, v39
	v_mul_f16_e32 v18, 0x3be1, v30
	v_add_f16_e32 v22, v6, v8
	v_sub_f16_e32 v3, v3, v5
	v_sub_f16_e32 v5, v6, v8
	;; [unrolled: 1-line block ×4, first 2 shown]
	v_add_f16_e32 v8, v14, v11
	v_add_f16_e32 v33, v23, v21
	v_sub_f16_e32 v16, v32, v37
	v_sub_f16_e32 v17, v38, v39
	v_fma_f16 v18, v20, 0xb924, -v18
	v_mul_f16_e32 v31, 0x3be1, v6
	v_add_f16_e32 v32, v12, v8
	v_mul_f16_e32 v37, 0xb924, v6
	v_mul_f16_e32 v38, 0x3be1, v4
	v_add_f16_e32 v39, v22, v33
	v_add_f16_e32 v19, v13, v15
	v_mul_f16_e32 v26, 0xb924, v30
	v_mul_f16_e32 v28, 0x3be1, v20
	v_fmac_f16_e32 v18, 0x3aee, v17
	v_fma_f16 v31, v4, 0xb924, -v31
	v_add_f16_e32 v32, v42, v32
	v_fmac_f16_e32 v37, 0x3be1, v3
	v_fmac_f16_e32 v38, 0x3924, v3
	v_add_f16_e32 v13, v13, v39
	v_add_f16_e32 v10, v42, v43
	;; [unrolled: 1-line block ×3, first 2 shown]
	v_fmac_f16_e32 v26, 0x3be1, v16
	v_fmac_f16_e32 v28, 0x3924, v16
	;; [unrolled: 1-line block ×4, first 2 shown]
	v_add_f16_e32 v16, v43, v32
	v_fmac_f16_e32 v37, 0xbaee, v5
	v_fmac_f16_e32 v38, 0x3aee, v5
	v_add_f16_e32 v5, v15, v13
	v_fmamk_f16 v7, v11, 0x3a21, v9
	v_add_f16_e32 v25, v9, v12
	v_fmamk_f16 v27, v10, 0x3a21, v9
	v_fmamk_f16 v29, v21, 0x3a21, v0
	v_add_f16_e32 v34, v0, v22
	v_add_f16_e32 v35, v3, v6
	v_fmamk_f16 v36, v19, 0x3a21, v0
	v_fmac_f16_e32 v31, 0x3579, v3
	v_add_f16_e32 v3, v9, v16
	v_fmac_f16_e32 v9, 0x3a21, v14
	v_add_f16_e32 v5, v0, v5
	v_fmac_f16_e32 v0, 0x3a21, v23
	v_fmac_f16_e32 v7, 0x318f, v10
	;; [unrolled: 1-line block ×7, first 2 shown]
	v_add_f16_e32 v8, v8, v10
	v_fmac_f16_e32 v7, -0.5, v12
	v_add_f16_e32 v33, v33, v19
	v_fmac_f16_e32 v26, 0xbaee, v17
	v_fmac_f16_e32 v27, -0.5, v12
	v_fmac_f16_e32 v28, 0x3aee, v17
	v_fmac_f16_e32 v29, -0.5, v22
	v_fmac_f16_e32 v36, -0.5, v22
	;; [unrolled: 1-line block ×4, first 2 shown]
	v_sub_f16_e32 v24, v24, v20
	v_fmac_f16_e32 v25, -0.5, v8
	v_sub_f16_e32 v8, v35, v4
	v_fmac_f16_e32 v7, 0xbb84, v14
	v_fmac_f16_e32 v34, -0.5, v33
	v_fmac_f16_e32 v26, 0x3579, v20
	v_fmac_f16_e32 v27, 0xbb84, v11
	;; [unrolled: 1-line block ×9, first 2 shown]
	v_mul_f16_e32 v40, 0x3aee, v24
	v_mul_f16_e32 v17, 0x3aee, v8
	v_fmac_f16_e32 v25, 0xbaee, v8
	v_fmac_f16_e32 v34, 0x3aee, v24
	v_add_f16_e32 v4, v18, v29
	v_sub_f16_e32 v6, v7, v31
	v_add_f16_e32 v11, v26, v36
	v_sub_f16_e32 v12, v27, v37
	v_sub_f16_e32 v9, v9, v38
	v_add_f16_e32 v0, v28, v0
	v_fma_f16 v8, 2.0, v17, v25
	v_fma_f16 v7, -2.0, v40, v34
	v_fma_f16 v14, -2.0, v18, v4
	v_fma_f16 v10, 2.0, v31, v6
	v_fma_f16 v15, -2.0, v26, v11
	v_fma_f16 v16, 2.0, v37, v12
	v_pack_b32_f16 v3, v5, v3
	v_pack_b32_f16 v5, v11, v12
	;; [unrolled: 1-line block ×3, first 2 shown]
	v_fma_f16 v6, 2.0, v38, v9
	v_fma_f16 v11, -2.0, v28, v0
	v_pack_b32_f16 v0, v0, v9
	v_pack_b32_f16 v13, v34, v25
	v_pack_b32_f16 v7, v7, v8
	v_pack_b32_f16 v8, v14, v10
	v_pack_b32_f16 v9, v15, v16
	v_pack_b32_f16 v6, v11, v6
	s_clause 0x8
	global_store_b32 v[1:2], v3, off
	global_store_b32 v[1:2], v0, off offset:308
	global_store_b32 v[1:2], v5, off offset:616
	;; [unrolled: 1-line block ×8, first 2 shown]
	s_nop 0
	s_sendmsg sendmsg(MSG_DEALLOC_VGPRS)
	s_endpgm
	.section	.rodata,"a",@progbits
	.p2align	6, 0x0
	.amdhsa_kernel fft_rtc_fwd_len693_factors_11_7_9_wgs_99_tpt_99_halfLds_half_op_CI_CI_unitstride_sbrr_dirReg
		.amdhsa_group_segment_fixed_size 0
		.amdhsa_private_segment_fixed_size 0
		.amdhsa_kernarg_size 104
		.amdhsa_user_sgpr_count 2
		.amdhsa_user_sgpr_dispatch_ptr 0
		.amdhsa_user_sgpr_queue_ptr 0
		.amdhsa_user_sgpr_kernarg_segment_ptr 1
		.amdhsa_user_sgpr_dispatch_id 0
		.amdhsa_user_sgpr_private_segment_size 0
		.amdhsa_wavefront_size32 1
		.amdhsa_uses_dynamic_stack 0
		.amdhsa_enable_private_segment 0
		.amdhsa_system_sgpr_workgroup_id_x 1
		.amdhsa_system_sgpr_workgroup_id_y 0
		.amdhsa_system_sgpr_workgroup_id_z 0
		.amdhsa_system_sgpr_workgroup_info 0
		.amdhsa_system_vgpr_workitem_id 0
		.amdhsa_next_free_vgpr 60
		.amdhsa_next_free_sgpr 39
		.amdhsa_reserve_vcc 1
		.amdhsa_float_round_mode_32 0
		.amdhsa_float_round_mode_16_64 0
		.amdhsa_float_denorm_mode_32 3
		.amdhsa_float_denorm_mode_16_64 3
		.amdhsa_fp16_overflow 0
		.amdhsa_workgroup_processor_mode 1
		.amdhsa_memory_ordered 1
		.amdhsa_forward_progress 0
		.amdhsa_round_robin_scheduling 0
		.amdhsa_exception_fp_ieee_invalid_op 0
		.amdhsa_exception_fp_denorm_src 0
		.amdhsa_exception_fp_ieee_div_zero 0
		.amdhsa_exception_fp_ieee_overflow 0
		.amdhsa_exception_fp_ieee_underflow 0
		.amdhsa_exception_fp_ieee_inexact 0
		.amdhsa_exception_int_div_zero 0
	.end_amdhsa_kernel
	.text
.Lfunc_end0:
	.size	fft_rtc_fwd_len693_factors_11_7_9_wgs_99_tpt_99_halfLds_half_op_CI_CI_unitstride_sbrr_dirReg, .Lfunc_end0-fft_rtc_fwd_len693_factors_11_7_9_wgs_99_tpt_99_halfLds_half_op_CI_CI_unitstride_sbrr_dirReg
                                        ; -- End function
	.section	.AMDGPU.csdata,"",@progbits
; Kernel info:
; codeLenInByte = 6444
; NumSgprs: 41
; NumVgprs: 60
; ScratchSize: 0
; MemoryBound: 0
; FloatMode: 240
; IeeeMode: 1
; LDSByteSize: 0 bytes/workgroup (compile time only)
; SGPRBlocks: 5
; VGPRBlocks: 7
; NumSGPRsForWavesPerEU: 41
; NumVGPRsForWavesPerEU: 60
; Occupancy: 16
; WaveLimiterHint : 1
; COMPUTE_PGM_RSRC2:SCRATCH_EN: 0
; COMPUTE_PGM_RSRC2:USER_SGPR: 2
; COMPUTE_PGM_RSRC2:TRAP_HANDLER: 0
; COMPUTE_PGM_RSRC2:TGID_X_EN: 1
; COMPUTE_PGM_RSRC2:TGID_Y_EN: 0
; COMPUTE_PGM_RSRC2:TGID_Z_EN: 0
; COMPUTE_PGM_RSRC2:TIDIG_COMP_CNT: 0
	.text
	.p2alignl 7, 3214868480
	.fill 96, 4, 3214868480
	.type	__hip_cuid_8fca2e73ba4b555c,@object ; @__hip_cuid_8fca2e73ba4b555c
	.section	.bss,"aw",@nobits
	.globl	__hip_cuid_8fca2e73ba4b555c
__hip_cuid_8fca2e73ba4b555c:
	.byte	0                               ; 0x0
	.size	__hip_cuid_8fca2e73ba4b555c, 1

	.ident	"AMD clang version 19.0.0git (https://github.com/RadeonOpenCompute/llvm-project roc-6.4.0 25133 c7fe45cf4b819c5991fe208aaa96edf142730f1d)"
	.section	".note.GNU-stack","",@progbits
	.addrsig
	.addrsig_sym __hip_cuid_8fca2e73ba4b555c
	.amdgpu_metadata
---
amdhsa.kernels:
  - .args:
      - .actual_access:  read_only
        .address_space:  global
        .offset:         0
        .size:           8
        .value_kind:     global_buffer
      - .offset:         8
        .size:           8
        .value_kind:     by_value
      - .actual_access:  read_only
        .address_space:  global
        .offset:         16
        .size:           8
        .value_kind:     global_buffer
      - .actual_access:  read_only
        .address_space:  global
        .offset:         24
        .size:           8
        .value_kind:     global_buffer
      - .actual_access:  read_only
        .address_space:  global
        .offset:         32
        .size:           8
        .value_kind:     global_buffer
      - .offset:         40
        .size:           8
        .value_kind:     by_value
      - .actual_access:  read_only
        .address_space:  global
        .offset:         48
        .size:           8
        .value_kind:     global_buffer
      - .actual_access:  read_only
        .address_space:  global
        .offset:         56
        .size:           8
        .value_kind:     global_buffer
      - .offset:         64
        .size:           4
        .value_kind:     by_value
      - .actual_access:  read_only
        .address_space:  global
        .offset:         72
        .size:           8
        .value_kind:     global_buffer
      - .actual_access:  read_only
        .address_space:  global
        .offset:         80
        .size:           8
        .value_kind:     global_buffer
      - .actual_access:  read_only
        .address_space:  global
        .offset:         88
        .size:           8
        .value_kind:     global_buffer
      - .actual_access:  write_only
        .address_space:  global
        .offset:         96
        .size:           8
        .value_kind:     global_buffer
    .group_segment_fixed_size: 0
    .kernarg_segment_align: 8
    .kernarg_segment_size: 104
    .language:       OpenCL C
    .language_version:
      - 2
      - 0
    .max_flat_workgroup_size: 99
    .name:           fft_rtc_fwd_len693_factors_11_7_9_wgs_99_tpt_99_halfLds_half_op_CI_CI_unitstride_sbrr_dirReg
    .private_segment_fixed_size: 0
    .sgpr_count:     41
    .sgpr_spill_count: 0
    .symbol:         fft_rtc_fwd_len693_factors_11_7_9_wgs_99_tpt_99_halfLds_half_op_CI_CI_unitstride_sbrr_dirReg.kd
    .uniform_work_group_size: 1
    .uses_dynamic_stack: false
    .vgpr_count:     60
    .vgpr_spill_count: 0
    .wavefront_size: 32
    .workgroup_processor_mode: 1
amdhsa.target:   amdgcn-amd-amdhsa--gfx1201
amdhsa.version:
  - 1
  - 2
...

	.end_amdgpu_metadata
